;; amdgpu-corpus repo=ROCm/rocFFT kind=compiled arch=gfx906 opt=O3
	.text
	.amdgcn_target "amdgcn-amd-amdhsa--gfx906"
	.amdhsa_code_object_version 6
	.protected	fft_rtc_fwd_len52_factors_13_4_wgs_64_tpt_4_halfLds_dp_ip_CI_unitstride_sbrr_R2C_dirReg ; -- Begin function fft_rtc_fwd_len52_factors_13_4_wgs_64_tpt_4_halfLds_dp_ip_CI_unitstride_sbrr_R2C_dirReg
	.globl	fft_rtc_fwd_len52_factors_13_4_wgs_64_tpt_4_halfLds_dp_ip_CI_unitstride_sbrr_R2C_dirReg
	.p2align	8
	.type	fft_rtc_fwd_len52_factors_13_4_wgs_64_tpt_4_halfLds_dp_ip_CI_unitstride_sbrr_R2C_dirReg,@function
fft_rtc_fwd_len52_factors_13_4_wgs_64_tpt_4_halfLds_dp_ip_CI_unitstride_sbrr_R2C_dirReg: ; @fft_rtc_fwd_len52_factors_13_4_wgs_64_tpt_4_halfLds_dp_ip_CI_unitstride_sbrr_R2C_dirReg
; %bb.0:
	s_load_dwordx2 s[12:13], s[4:5], 0x50
	s_load_dwordx4 s[8:11], s[4:5], 0x0
	s_load_dwordx2 s[2:3], s[4:5], 0x18
	v_lshrrev_b32_e32 v9, 2, v0
	v_mov_b32_e32 v3, 0
	v_mov_b32_e32 v1, 0
	s_waitcnt lgkmcnt(0)
	v_cmp_lt_u64_e64 s[0:1], s[10:11], 2
	v_lshl_or_b32 v5, s6, 4, v9
	v_mov_b32_e32 v6, v3
	s_and_b64 vcc, exec, s[0:1]
	v_mov_b32_e32 v2, 0
	s_cbranch_vccnz .LBB0_8
; %bb.1:
	s_load_dwordx2 s[0:1], s[4:5], 0x10
	s_add_u32 s6, s2, 8
	s_addc_u32 s7, s3, 0
	v_mov_b32_e32 v1, 0
	v_mov_b32_e32 v2, 0
	s_waitcnt lgkmcnt(0)
	s_add_u32 s14, s0, 8
	s_addc_u32 s15, s1, 0
	s_mov_b64 s[16:17], 1
.LBB0_2:                                ; =>This Inner Loop Header: Depth=1
	s_load_dwordx2 s[18:19], s[14:15], 0x0
                                        ; implicit-def: $vgpr7_vgpr8
	s_waitcnt lgkmcnt(0)
	v_or_b32_e32 v4, s19, v6
	v_cmp_ne_u64_e32 vcc, 0, v[3:4]
	s_and_saveexec_b64 s[0:1], vcc
	s_xor_b64 s[20:21], exec, s[0:1]
	s_cbranch_execz .LBB0_4
; %bb.3:                                ;   in Loop: Header=BB0_2 Depth=1
	v_cvt_f32_u32_e32 v4, s18
	v_cvt_f32_u32_e32 v7, s19
	s_sub_u32 s0, 0, s18
	s_subb_u32 s1, 0, s19
	v_mac_f32_e32 v4, 0x4f800000, v7
	v_rcp_f32_e32 v4, v4
	v_mul_f32_e32 v4, 0x5f7ffffc, v4
	v_mul_f32_e32 v7, 0x2f800000, v4
	v_trunc_f32_e32 v7, v7
	v_mac_f32_e32 v4, 0xcf800000, v7
	v_cvt_u32_f32_e32 v7, v7
	v_cvt_u32_f32_e32 v4, v4
	v_mul_lo_u32 v8, s0, v7
	v_mul_hi_u32 v10, s0, v4
	v_mul_lo_u32 v12, s1, v4
	v_mul_lo_u32 v11, s0, v4
	v_add_u32_e32 v8, v10, v8
	v_add_u32_e32 v8, v8, v12
	v_mul_hi_u32 v10, v4, v11
	v_mul_lo_u32 v12, v4, v8
	v_mul_hi_u32 v14, v4, v8
	v_mul_hi_u32 v13, v7, v11
	v_mul_lo_u32 v11, v7, v11
	v_mul_hi_u32 v15, v7, v8
	v_add_co_u32_e32 v10, vcc, v10, v12
	v_addc_co_u32_e32 v12, vcc, 0, v14, vcc
	v_mul_lo_u32 v8, v7, v8
	v_add_co_u32_e32 v10, vcc, v10, v11
	v_addc_co_u32_e32 v10, vcc, v12, v13, vcc
	v_addc_co_u32_e32 v11, vcc, 0, v15, vcc
	v_add_co_u32_e32 v8, vcc, v10, v8
	v_addc_co_u32_e32 v10, vcc, 0, v11, vcc
	v_add_co_u32_e32 v4, vcc, v4, v8
	v_addc_co_u32_e32 v7, vcc, v7, v10, vcc
	v_mul_lo_u32 v8, s0, v7
	v_mul_hi_u32 v10, s0, v4
	v_mul_lo_u32 v11, s1, v4
	v_mul_lo_u32 v12, s0, v4
	v_add_u32_e32 v8, v10, v8
	v_add_u32_e32 v8, v8, v11
	v_mul_lo_u32 v13, v4, v8
	v_mul_hi_u32 v14, v4, v12
	v_mul_hi_u32 v15, v4, v8
	;; [unrolled: 1-line block ×3, first 2 shown]
	v_mul_lo_u32 v12, v7, v12
	v_mul_hi_u32 v10, v7, v8
	v_add_co_u32_e32 v13, vcc, v14, v13
	v_addc_co_u32_e32 v14, vcc, 0, v15, vcc
	v_mul_lo_u32 v8, v7, v8
	v_add_co_u32_e32 v12, vcc, v13, v12
	v_addc_co_u32_e32 v11, vcc, v14, v11, vcc
	v_addc_co_u32_e32 v10, vcc, 0, v10, vcc
	v_add_co_u32_e32 v8, vcc, v11, v8
	v_addc_co_u32_e32 v10, vcc, 0, v10, vcc
	v_add_co_u32_e32 v4, vcc, v4, v8
	v_addc_co_u32_e32 v10, vcc, v7, v10, vcc
	v_mad_u64_u32 v[7:8], s[0:1], v5, v10, 0
	v_mul_hi_u32 v11, v5, v4
	v_add_co_u32_e32 v12, vcc, v11, v7
	v_addc_co_u32_e32 v13, vcc, 0, v8, vcc
	v_mad_u64_u32 v[7:8], s[0:1], v6, v4, 0
	v_mad_u64_u32 v[10:11], s[0:1], v6, v10, 0
	v_add_co_u32_e32 v4, vcc, v12, v7
	v_addc_co_u32_e32 v4, vcc, v13, v8, vcc
	v_addc_co_u32_e32 v7, vcc, 0, v11, vcc
	v_add_co_u32_e32 v4, vcc, v4, v10
	v_addc_co_u32_e32 v10, vcc, 0, v7, vcc
	v_mul_lo_u32 v11, s19, v4
	v_mul_lo_u32 v12, s18, v10
	v_mad_u64_u32 v[7:8], s[0:1], s18, v4, 0
	v_add3_u32 v8, v8, v12, v11
	v_sub_u32_e32 v11, v6, v8
	v_mov_b32_e32 v12, s19
	v_sub_co_u32_e32 v7, vcc, v5, v7
	v_subb_co_u32_e64 v11, s[0:1], v11, v12, vcc
	v_subrev_co_u32_e64 v12, s[0:1], s18, v7
	v_subbrev_co_u32_e64 v11, s[0:1], 0, v11, s[0:1]
	v_cmp_le_u32_e64 s[0:1], s19, v11
	v_cndmask_b32_e64 v13, 0, -1, s[0:1]
	v_cmp_le_u32_e64 s[0:1], s18, v12
	v_cndmask_b32_e64 v12, 0, -1, s[0:1]
	v_cmp_eq_u32_e64 s[0:1], s19, v11
	v_cndmask_b32_e64 v11, v13, v12, s[0:1]
	v_add_co_u32_e64 v12, s[0:1], 2, v4
	v_addc_co_u32_e64 v13, s[0:1], 0, v10, s[0:1]
	v_add_co_u32_e64 v14, s[0:1], 1, v4
	v_addc_co_u32_e64 v15, s[0:1], 0, v10, s[0:1]
	v_subb_co_u32_e32 v8, vcc, v6, v8, vcc
	v_cmp_ne_u32_e64 s[0:1], 0, v11
	v_cmp_le_u32_e32 vcc, s19, v8
	v_cndmask_b32_e64 v11, v15, v13, s[0:1]
	v_cndmask_b32_e64 v13, 0, -1, vcc
	v_cmp_le_u32_e32 vcc, s18, v7
	v_cndmask_b32_e64 v7, 0, -1, vcc
	v_cmp_eq_u32_e32 vcc, s19, v8
	v_cndmask_b32_e32 v7, v13, v7, vcc
	v_cmp_ne_u32_e32 vcc, 0, v7
	v_cndmask_b32_e64 v7, v14, v12, s[0:1]
	v_cndmask_b32_e32 v8, v10, v11, vcc
	v_cndmask_b32_e32 v7, v4, v7, vcc
.LBB0_4:                                ;   in Loop: Header=BB0_2 Depth=1
	s_andn2_saveexec_b64 s[0:1], s[20:21]
	s_cbranch_execz .LBB0_6
; %bb.5:                                ;   in Loop: Header=BB0_2 Depth=1
	v_cvt_f32_u32_e32 v4, s18
	s_sub_i32 s20, 0, s18
	v_rcp_iflag_f32_e32 v4, v4
	v_mul_f32_e32 v4, 0x4f7ffffe, v4
	v_cvt_u32_f32_e32 v4, v4
	v_mul_lo_u32 v7, s20, v4
	v_mul_hi_u32 v7, v4, v7
	v_add_u32_e32 v4, v4, v7
	v_mul_hi_u32 v4, v5, v4
	v_mul_lo_u32 v7, v4, s18
	v_add_u32_e32 v8, 1, v4
	v_sub_u32_e32 v7, v5, v7
	v_subrev_u32_e32 v10, s18, v7
	v_cmp_le_u32_e32 vcc, s18, v7
	v_cndmask_b32_e32 v7, v7, v10, vcc
	v_cndmask_b32_e32 v4, v4, v8, vcc
	v_add_u32_e32 v8, 1, v4
	v_cmp_le_u32_e32 vcc, s18, v7
	v_cndmask_b32_e32 v7, v4, v8, vcc
	v_mov_b32_e32 v8, v3
.LBB0_6:                                ;   in Loop: Header=BB0_2 Depth=1
	s_or_b64 exec, exec, s[0:1]
	v_mul_lo_u32 v4, v8, s18
	v_mul_lo_u32 v12, v7, s19
	v_mad_u64_u32 v[10:11], s[0:1], v7, s18, 0
	s_load_dwordx2 s[0:1], s[6:7], 0x0
	s_add_u32 s16, s16, 1
	v_add3_u32 v4, v11, v12, v4
	v_sub_co_u32_e32 v5, vcc, v5, v10
	v_subb_co_u32_e32 v4, vcc, v6, v4, vcc
	s_waitcnt lgkmcnt(0)
	v_mul_lo_u32 v4, s0, v4
	v_mul_lo_u32 v6, s1, v5
	v_mad_u64_u32 v[1:2], s[0:1], s0, v5, v[1:2]
	s_addc_u32 s17, s17, 0
	s_add_u32 s6, s6, 8
	v_add3_u32 v2, v6, v2, v4
	v_mov_b32_e32 v4, s10
	v_mov_b32_e32 v5, s11
	s_addc_u32 s7, s7, 0
	v_cmp_ge_u64_e32 vcc, s[16:17], v[4:5]
	s_add_u32 s14, s14, 8
	s_addc_u32 s15, s15, 0
	s_cbranch_vccnz .LBB0_9
; %bb.7:                                ;   in Loop: Header=BB0_2 Depth=1
	v_mov_b32_e32 v5, v7
	v_mov_b32_e32 v6, v8
	s_branch .LBB0_2
.LBB0_8:
	v_mov_b32_e32 v8, v6
	v_mov_b32_e32 v7, v5
.LBB0_9:
	s_lshl_b64 s[0:1], s[10:11], 3
	s_add_u32 s0, s2, s0
	s_addc_u32 s1, s3, s1
	s_load_dwordx2 s[2:3], s[0:1], 0x0
	s_load_dwordx2 s[6:7], s[4:5], 0x20
	v_and_b32_e32 v64, 3, v0
	v_or_b32_e32 v68, 4, v64
	v_or_b32_e32 v70, 8, v64
	s_waitcnt lgkmcnt(0)
	v_mul_lo_u32 v3, s2, v8
	v_mul_lo_u32 v4, s3, v7
	v_mad_u64_u32 v[1:2], s[0:1], s2, v7, v[1:2]
	v_cmp_gt_u64_e32 vcc, s[6:7], v[7:8]
	v_cmp_le_u64_e64 s[0:1], s[6:7], v[7:8]
	v_add3_u32 v2, v4, v2, v3
	s_and_saveexec_b64 s[2:3], s[0:1]
	s_xor_b64 s[0:1], exec, s[2:3]
; %bb.10:
	v_or_b32_e32 v68, 4, v64
	v_or_b32_e32 v70, 8, v64
; %bb.11:
	s_or_saveexec_b64 s[2:3], s[0:1]
	v_mul_u32_u24_e32 v0, 53, v9
	v_lshlrev_b64 v[66:67], 4, v[1:2]
	v_lshlrev_b32_e32 v65, 4, v64
	v_lshlrev_b32_e32 v0, 4, v0
	s_xor_b64 exec, exec, s[2:3]
	s_cbranch_execz .LBB0_13
; %bb.12:
	v_mov_b32_e32 v1, s13
	v_add_co_u32_e64 v2, s[0:1], s12, v66
	v_addc_co_u32_e64 v1, s[0:1], v1, v67, s[0:1]
	v_add_co_u32_e64 v53, s[0:1], v2, v65
	v_addc_co_u32_e64 v54, s[0:1], 0, v1, s[0:1]
	global_load_dwordx4 v[1:4], v[53:54], off
	global_load_dwordx4 v[5:8], v[53:54], off offset:64
	global_load_dwordx4 v[9:12], v[53:54], off offset:128
	;; [unrolled: 1-line block ×12, first 2 shown]
	v_add3_u32 v53, 0, v0, v65
	s_waitcnt vmcnt(12)
	ds_write_b128 v53, v[1:4]
	s_waitcnt vmcnt(11)
	ds_write_b128 v53, v[5:8] offset:64
	s_waitcnt vmcnt(10)
	ds_write_b128 v53, v[9:12] offset:128
	;; [unrolled: 2-line block ×12, first 2 shown]
.LBB0_13:
	s_or_b64 exec, exec, s[2:3]
	v_add_u32_e32 v69, 0, v0
	v_add3_u32 v71, 0, v65, v0
	s_waitcnt lgkmcnt(0)
	; wave barrier
	s_waitcnt lgkmcnt(0)
	v_add_u32_e32 v72, v69, v65
	ds_read_b128 v[4:7], v71 offset:64
	ds_read_b128 v[0:3], v72
	ds_read_b128 v[8:11], v71 offset:128
	ds_read_b128 v[40:43], v71 offset:192
	;; [unrolled: 1-line block ×4, first 2 shown]
	s_waitcnt lgkmcnt(4)
	v_add_f64 v[12:13], v[0:1], v[4:5]
	v_add_f64 v[14:15], v[2:3], v[6:7]
	ds_read_b128 v[16:19], v71 offset:384
	ds_read_b128 v[20:23], v71 offset:448
	;; [unrolled: 1-line block ×7, first 2 shown]
	s_mov_b32 s15, 0xbfddbe06
	s_mov_b32 s14, 0x4267c47c
	;; [unrolled: 1-line block ×3, first 2 shown]
	s_waitcnt lgkmcnt(10)
	v_add_f64 v[12:13], v[12:13], v[8:9]
	v_add_f64 v[14:15], v[14:15], v[10:11]
	s_waitcnt lgkmcnt(0)
	v_add_f64 v[77:78], v[6:7], -v[62:63]
	s_mov_b32 s20, 0x42a4c3d2
	s_mov_b32 s24, 0x66966769
	;; [unrolled: 1-line block ×5, first 2 shown]
	v_add_f64 v[12:13], v[12:13], v[40:41]
	v_add_f64 v[14:15], v[14:15], v[42:43]
	s_mov_b32 s5, 0x3fec55a7
	s_mov_b32 s21, 0xbfea55e2
	;; [unrolled: 1-line block ×6, first 2 shown]
	v_add_f64 v[12:13], v[12:13], v[34:35]
	v_add_f64 v[14:15], v[14:15], v[36:37]
	v_mul_f64 v[79:80], v[77:78], s[10:11]
	s_mov_b32 s2, 0x1ea71119
	s_mov_b32 s0, 0xebaa3ed8
	;; [unrolled: 1-line block ×5, first 2 shown]
	v_add_f64 v[12:13], v[12:13], v[24:25]
	v_add_f64 v[14:15], v[14:15], v[26:27]
	s_mov_b32 s3, 0x3fe22d96
	s_mov_b32 s1, 0x3fbedb7d
	;; [unrolled: 1-line block ×6, first 2 shown]
	v_add_f64 v[28:29], v[12:13], v[16:17]
	v_add_f64 v[30:31], v[14:15], v[18:19]
	;; [unrolled: 1-line block ×4, first 2 shown]
	v_add_f64 v[16:17], v[16:17], -v[20:21]
	v_add_f64 v[18:19], v[18:19], -v[22:23]
	s_mov_b32 s30, s16
	s_mov_b32 s29, 0x3fefc445
	v_add_f64 v[32:33], v[28:29], v[20:21]
	v_add_f64 v[38:39], v[30:31], v[22:23]
	;; [unrolled: 1-line block ×4, first 2 shown]
	v_add_f64 v[24:25], v[24:25], -v[44:45]
	v_add_f64 v[30:31], v[26:27], -v[46:47]
	v_add_f64 v[26:27], v[36:37], v[50:51]
	v_add_f64 v[28:29], v[34:35], v[48:49]
	;; [unrolled: 1-line block ×4, first 2 shown]
	v_add_f64 v[38:39], v[36:37], -v[50:51]
	v_add_f64 v[36:37], v[40:41], v[52:53]
	v_add_f64 v[44:45], v[40:41], -v[52:53]
	v_add_f64 v[40:41], v[10:11], v[58:59]
	;; [unrolled: 2-line block ×3, first 2 shown]
	v_add_f64 v[73:74], v[73:74], v[48:49]
	v_add_f64 v[75:76], v[75:76], v[50:51]
	v_add_f64 v[50:51], v[10:11], -v[58:59]
	v_add_f64 v[46:47], v[42:43], -v[54:55]
	v_add_f64 v[42:43], v[8:9], v[56:57]
	v_add_f64 v[48:49], v[8:9], -v[56:57]
	v_add_f64 v[8:9], v[4:5], v[60:61]
	v_mul_f64 v[115:116], v[44:45], s[24:25]
	v_add_f64 v[10:11], v[73:74], v[52:53]
	v_add_f64 v[52:53], v[75:76], v[54:55]
	;; [unrolled: 1-line block ×3, first 2 shown]
	v_mul_f64 v[6:7], v[77:78], s[14:15]
	v_add_f64 v[73:74], v[4:5], -v[60:61]
	v_mul_f64 v[4:5], v[77:78], s[20:21]
	v_mul_f64 v[75:76], v[77:78], s[24:25]
	v_mul_f64 v[107:108], v[48:49], s[20:21]
	v_add_f64 v[10:11], v[10:11], v[56:57]
	v_add_f64 v[52:53], v[52:53], v[58:59]
	v_mul_f64 v[56:57], v[77:78], s[16:17]
	v_fma_f64 v[58:59], v[8:9], s[4:5], -v[6:7]
	v_fma_f64 v[81:82], v[8:9], s[4:5], v[6:7]
	v_fma_f64 v[83:84], v[8:9], s[2:3], -v[4:5]
	v_fma_f64 v[85:86], v[8:9], s[2:3], v[4:5]
	v_fma_f64 v[87:88], v[8:9], s[0:1], -v[75:76]
	v_add_f64 v[4:5], v[10:11], v[60:61]
	v_add_f64 v[6:7], v[52:53], v[62:63]
	v_mul_f64 v[52:53], v[77:78], s[26:27]
	v_mul_f64 v[77:78], v[73:74], s[14:15]
	v_fma_f64 v[10:11], v[8:9], s[0:1], v[75:76]
	v_fma_f64 v[60:61], v[8:9], s[6:7], -v[79:80]
	v_fma_f64 v[62:63], v[8:9], s[6:7], v[79:80]
	v_fma_f64 v[75:76], v[8:9], s[18:19], -v[56:57]
	v_fma_f64 v[56:57], v[8:9], s[18:19], v[56:57]
	v_mul_f64 v[89:90], v[73:74], s[20:21]
	v_fma_f64 v[79:80], v[8:9], s[22:23], -v[52:53]
	v_fma_f64 v[8:9], v[8:9], s[22:23], v[52:53]
	v_mul_f64 v[52:53], v[73:74], s[24:25]
	v_fma_f64 v[91:92], v[54:55], s[4:5], v[77:78]
	v_mul_f64 v[93:94], v[73:74], s[10:11]
	v_mul_f64 v[95:96], v[73:74], s[16:17]
	v_mul_f64 v[73:74], v[73:74], s[26:27]
	v_fma_f64 v[77:78], v[54:55], s[4:5], -v[77:78]
	v_fma_f64 v[97:98], v[54:55], s[2:3], v[89:90]
	v_fma_f64 v[89:90], v[54:55], s[2:3], -v[89:90]
	v_fma_f64 v[99:100], v[54:55], s[0:1], v[52:53]
	;; [unrolled: 2-line block ×5, first 2 shown]
	v_fma_f64 v[54:55], v[54:55], s[22:23], -v[73:74]
	v_add_f64 v[73:74], v[2:3], v[91:92]
	v_mul_f64 v[91:92], v[50:51], s[20:21]
	v_add_f64 v[58:59], v[0:1], v[58:59]
	v_fma_f64 v[111:112], v[40:41], s[2:3], v[107:108]
	v_mul_f64 v[113:114], v[46:47], s[24:25]
	v_add_f64 v[117:118], v[0:1], v[10:11]
	v_add_f64 v[119:120], v[2:3], v[52:53]
	;; [unrolled: 1-line block ×4, first 2 shown]
	v_fma_f64 v[109:110], v[42:43], s[2:3], -v[91:92]
	v_mul_f64 v[62:63], v[30:31], s[16:17]
	v_add_f64 v[52:53], v[111:112], v[73:74]
	v_fma_f64 v[73:74], v[32:33], s[0:1], v[115:116]
	v_mul_f64 v[111:112], v[34:35], s[10:11]
	v_add_f64 v[81:82], v[0:1], v[81:82]
	v_add_f64 v[77:78], v[2:3], v[77:78]
	;; [unrolled: 1-line block ×4, first 2 shown]
	v_fma_f64 v[58:59], v[36:37], s[0:1], -v[113:114]
	v_mul_f64 v[109:110], v[38:39], s[10:11]
	v_add_f64 v[52:53], v[73:74], v[52:53]
	v_fma_f64 v[60:61], v[26:27], s[6:7], v[111:112]
	v_fma_f64 v[56:57], v[42:43], s[2:3], v[91:92]
	v_fma_f64 v[73:74], v[40:41], s[2:3], -v[107:108]
	v_add_f64 v[125:126], v[0:1], v[75:76]
	v_add_f64 v[91:92], v[2:3], v[95:96]
	;; [unrolled: 1-line block ×3, first 2 shown]
	v_fma_f64 v[58:59], v[28:29], s[6:7], -v[109:110]
	v_add_f64 v[95:96], v[0:1], v[79:80]
	v_add_f64 v[52:53], v[60:61], v[52:53]
	v_mul_f64 v[60:61], v[24:25], s[16:17]
	v_add_f64 v[56:57], v[56:57], v[81:82]
	v_fma_f64 v[75:76], v[36:37], s[0:1], v[113:114]
	v_mul_f64 v[79:80], v[18:19], s[26:27]
	v_add_f64 v[73:74], v[73:74], v[77:78]
	v_add_f64 v[10:11], v[58:59], v[10:11]
	v_fma_f64 v[58:59], v[22:23], s[18:19], -v[62:63]
	v_mul_f64 v[77:78], v[16:17], s[26:27]
	v_add_f64 v[83:84], v[0:1], v[83:84]
	v_add_f64 v[97:98], v[2:3], v[97:98]
	;; [unrolled: 1-line block ×7, first 2 shown]
	v_fma_f64 v[58:59], v[20:21], s[18:19], v[60:61]
	v_add_f64 v[101:102], v[2:3], v[101:102]
	v_add_f64 v[93:94], v[2:3], v[93:94]
	;; [unrolled: 1-line block ×6, first 2 shown]
	v_fma_f64 v[8:9], v[14:15], s[22:23], -v[79:80]
	v_fma_f64 v[56:57], v[32:33], s[0:1], -v[115:116]
	v_fma_f64 v[75:76], v[28:29], s[6:7], v[109:110]
	v_add_f64 v[109:110], v[2:3], v[54:55]
	v_add_f64 v[2:3], v[58:59], v[52:53]
	v_fma_f64 v[52:53], v[12:13], s[22:23], v[77:78]
	v_mul_f64 v[54:55], v[50:51], s[10:11]
	v_mul_f64 v[58:59], v[48:49], s[10:11]
	v_add_f64 v[8:9], v[8:9], v[10:11]
	v_add_f64 v[56:57], v[56:57], v[73:74]
	;; [unrolled: 1-line block ×3, first 2 shown]
	v_fma_f64 v[73:74], v[26:27], s[6:7], -v[111:112]
	v_fma_f64 v[62:63], v[22:23], s[18:19], v[62:63]
	v_add_f64 v[10:11], v[52:53], v[2:3]
	v_fma_f64 v[2:3], v[42:43], s[6:7], -v[54:55]
	v_fma_f64 v[52:53], v[40:41], s[6:7], v[58:59]
	v_mul_f64 v[75:76], v[46:47], s[26:27]
	v_mul_f64 v[81:82], v[44:45], s[26:27]
	v_fma_f64 v[60:61], v[20:21], s[18:19], -v[60:61]
	v_add_f64 v[56:57], v[73:74], v[56:57]
	v_add_f64 v[0:1], v[62:63], v[0:1]
	s_mov_b32 s28, s24
	v_add_f64 v[2:3], v[2:3], v[83:84]
	v_add_f64 v[52:53], v[52:53], v[97:98]
	v_fma_f64 v[62:63], v[36:37], s[22:23], -v[75:76]
	v_fma_f64 v[73:74], v[32:33], s[22:23], v[81:82]
	v_mul_f64 v[83:84], v[38:39], s[30:31]
	v_mul_f64 v[97:98], v[34:35], s[30:31]
	v_add_f64 v[56:57], v[60:61], v[56:57]
	v_fma_f64 v[54:55], v[42:43], s[6:7], v[54:55]
	s_mov_b32 s15, 0x3fddbe06
	v_fma_f64 v[58:59], v[40:41], s[6:7], -v[58:59]
	v_add_f64 v[2:3], v[62:63], v[2:3]
	v_add_f64 v[52:53], v[73:74], v[52:53]
	v_fma_f64 v[60:61], v[28:29], s[18:19], -v[83:84]
	v_fma_f64 v[62:63], v[26:27], s[18:19], v[97:98]
	v_mul_f64 v[73:74], v[30:31], s[28:29]
	v_add_f64 v[54:55], v[54:55], v[85:86]
	v_mul_f64 v[85:86], v[18:19], s[14:15]
	v_fma_f64 v[75:76], v[36:37], s[22:23], v[75:76]
	v_fma_f64 v[77:78], v[12:13], s[22:23], -v[77:78]
	v_fma_f64 v[79:80], v[14:15], s[22:23], v[79:80]
	v_add_f64 v[2:3], v[60:61], v[2:3]
	v_add_f64 v[52:53], v[62:63], v[52:53]
	v_fma_f64 v[60:61], v[22:23], s[0:1], -v[73:74]
	v_mul_f64 v[62:63], v[24:25], s[28:29]
	v_add_f64 v[58:59], v[58:59], v[89:90]
	v_fma_f64 v[89:90], v[14:15], s[4:5], -v[85:86]
	v_add_f64 v[54:55], v[75:76], v[54:55]
	v_mul_f64 v[75:76], v[16:17], s[14:15]
	v_fma_f64 v[81:82], v[32:33], s[22:23], -v[81:82]
	v_fma_f64 v[83:84], v[28:29], s[18:19], v[83:84]
	v_add_f64 v[60:61], v[60:61], v[2:3]
	v_fma_f64 v[111:112], v[20:21], s[0:1], v[62:63]
	v_add_f64 v[2:3], v[77:78], v[56:57]
	v_mul_f64 v[77:78], v[50:51], s[26:27]
	s_mov_b32 s35, 0x3fedeba7
	s_mov_b32 s34, s10
	v_add_f64 v[0:1], v[79:80], v[0:1]
	v_add_f64 v[58:59], v[81:82], v[58:59]
	;; [unrolled: 1-line block ×5, first 2 shown]
	v_fma_f64 v[60:61], v[12:13], s[4:5], v[75:76]
	v_fma_f64 v[81:82], v[26:27], s[18:19], -v[97:98]
	v_mul_f64 v[83:84], v[48:49], s[26:27]
	v_fma_f64 v[73:74], v[22:23], s[0:1], v[73:74]
	v_fma_f64 v[89:90], v[42:43], s[22:23], -v[77:78]
	v_mul_f64 v[97:98], v[46:47], s[34:35]
	v_fma_f64 v[62:63], v[20:21], s[0:1], -v[62:63]
	v_fma_f64 v[85:86], v[14:15], s[4:5], v[85:86]
	v_add_f64 v[54:55], v[60:61], v[56:57]
	v_add_f64 v[56:57], v[81:82], v[58:59]
	v_fma_f64 v[58:59], v[40:41], s[22:23], v[83:84]
	v_mul_f64 v[60:61], v[44:45], s[34:35]
	v_add_f64 v[73:74], v[73:74], v[79:80]
	v_add_f64 v[79:80], v[89:90], v[87:88]
	v_fma_f64 v[81:82], v[36:37], s[6:7], -v[97:98]
	v_mul_f64 v[87:88], v[38:39], s[14:15]
	v_fma_f64 v[75:76], v[12:13], s[4:5], -v[75:76]
	v_add_f64 v[62:63], v[62:63], v[56:57]
	v_add_f64 v[58:59], v[58:59], v[99:100]
	v_fma_f64 v[89:90], v[32:33], s[6:7], v[60:61]
	v_mul_f64 v[99:100], v[34:35], s[14:15]
	v_add_f64 v[56:57], v[85:86], v[73:74]
	v_add_f64 v[79:80], v[81:82], v[79:80]
	v_fma_f64 v[81:82], v[28:29], s[4:5], -v[87:88]
	v_fma_f64 v[73:74], v[42:43], s[22:23], v[77:78]
	v_fma_f64 v[60:61], v[32:33], s[6:7], -v[60:61]
	v_mul_f64 v[111:112], v[16:17], s[16:17]
	v_add_f64 v[77:78], v[89:90], v[58:59]
	v_fma_f64 v[85:86], v[26:27], s[4:5], v[99:100]
	v_mul_f64 v[89:90], v[30:31], s[20:21]
	v_add_f64 v[58:59], v[75:76], v[62:63]
	v_fma_f64 v[62:63], v[40:41], s[22:23], -v[83:84]
	v_add_f64 v[75:76], v[81:82], v[79:80]
	v_mul_f64 v[79:80], v[24:25], s[20:21]
	v_add_f64 v[73:74], v[73:74], v[117:118]
	v_fma_f64 v[81:82], v[36:37], s[6:7], v[97:98]
	v_add_f64 v[77:78], v[85:86], v[77:78]
	v_fma_f64 v[83:84], v[22:23], s[2:3], -v[89:90]
	v_mul_f64 v[85:86], v[18:19], s[16:17]
	v_add_f64 v[62:63], v[62:63], v[119:120]
	v_fma_f64 v[99:100], v[26:27], s[4:5], -v[99:100]
	v_fma_f64 v[97:98], v[20:21], s[2:3], v[79:80]
	v_mul_f64 v[113:114], v[48:49], s[30:31]
	v_add_f64 v[73:74], v[81:82], v[73:74]
	v_fma_f64 v[81:82], v[28:29], s[4:5], v[87:88]
	v_mul_f64 v[87:88], v[50:51], s[30:31]
	v_add_f64 v[75:76], v[83:84], v[75:76]
	v_fma_f64 v[83:84], v[14:15], s[18:19], -v[85:86]
	v_add_f64 v[62:63], v[60:61], v[62:63]
	v_add_f64 v[77:78], v[97:98], v[77:78]
	v_fma_f64 v[97:98], v[12:13], s[18:19], v[111:112]
	v_mul_f64 v[115:116], v[46:47], s[14:15]
	v_add_f64 v[73:74], v[81:82], v[73:74]
	v_fma_f64 v[81:82], v[42:43], s[18:19], -v[87:88]
	v_fma_f64 v[79:80], v[20:21], s[2:3], -v[79:80]
	v_add_f64 v[60:61], v[83:84], v[75:76]
	v_add_f64 v[75:76], v[99:100], v[62:63]
	v_fma_f64 v[83:84], v[22:23], s[2:3], v[89:90]
	v_add_f64 v[62:63], v[97:98], v[77:78]
	v_fma_f64 v[89:90], v[36:37], s[4:5], -v[115:116]
	v_mul_f64 v[97:98], v[44:45], s[14:15]
	v_add_f64 v[77:78], v[81:82], v[121:122]
	v_fma_f64 v[81:82], v[40:41], s[18:19], v[113:114]
	v_mul_f64 v[99:100], v[38:39], s[24:25]
	s_mov_b32 s27, 0x3fcea1e5
	v_add_f64 v[73:74], v[83:84], v[73:74]
	v_add_f64 v[75:76], v[79:80], v[75:76]
	v_fma_f64 v[79:80], v[14:15], s[18:19], v[85:86]
	v_fma_f64 v[83:84], v[12:13], s[18:19], -v[111:112]
	v_add_f64 v[77:78], v[89:90], v[77:78]
	v_add_f64 v[81:82], v[81:82], v[101:102]
	v_fma_f64 v[85:86], v[32:33], s[4:5], v[97:98]
	v_fma_f64 v[89:90], v[28:29], s[0:1], -v[99:100]
	v_mul_f64 v[101:102], v[34:35], s[24:25]
	v_mul_f64 v[111:112], v[30:31], s[26:27]
	v_add_f64 v[73:74], v[79:80], v[73:74]
	v_add_f64 v[75:76], v[83:84], v[75:76]
	s_mov_b32 s25, 0x3fea55e2
	s_mov_b32 s24, s20
	v_add_f64 v[79:80], v[85:86], v[81:82]
	v_add_f64 v[77:78], v[89:90], v[77:78]
	v_fma_f64 v[81:82], v[26:27], s[0:1], v[101:102]
	v_fma_f64 v[83:84], v[22:23], s[22:23], -v[111:112]
	v_mul_f64 v[85:86], v[24:25], s[26:27]
	v_fma_f64 v[87:88], v[42:43], s[18:19], v[87:88]
	v_fma_f64 v[113:114], v[40:41], s[18:19], -v[113:114]
	v_mul_f64 v[89:90], v[18:19], s[24:25]
	v_fma_f64 v[97:98], v[32:33], s[4:5], -v[97:98]
	v_mul_f64 v[119:120], v[38:39], s[26:27]
	v_add_f64 v[79:80], v[81:82], v[79:80]
	v_add_f64 v[77:78], v[83:84], v[77:78]
	v_fma_f64 v[81:82], v[20:21], s[22:23], v[85:86]
	v_mul_f64 v[83:84], v[16:17], s[24:25]
	v_add_f64 v[87:88], v[87:88], v[123:124]
	v_add_f64 v[93:94], v[113:114], v[93:94]
	v_fma_f64 v[113:114], v[36:37], s[4:5], v[115:116]
	v_mul_f64 v[115:116], v[50:51], s[28:29]
	v_fma_f64 v[117:118], v[14:15], s[2:3], -v[89:90]
	v_fma_f64 v[85:86], v[20:21], s[22:23], -v[85:86]
	v_add_f64 v[79:80], v[81:82], v[79:80]
	v_fma_f64 v[81:82], v[12:13], s[2:3], v[83:84]
	v_fma_f64 v[89:90], v[14:15], s[2:3], v[89:90]
	v_add_f64 v[93:94], v[97:98], v[93:94]
	v_add_f64 v[87:88], v[113:114], v[87:88]
	v_fma_f64 v[97:98], v[28:29], s[0:1], v[99:100]
	v_fma_f64 v[99:100], v[26:27], s[0:1], -v[101:102]
	v_mul_f64 v[101:102], v[48:49], s[28:29]
	v_mul_f64 v[113:114], v[46:47], s[20:21]
	v_add_f64 v[79:80], v[81:82], v[79:80]
	v_fma_f64 v[81:82], v[42:43], s[0:1], -v[115:116]
	v_add_f64 v[77:78], v[117:118], v[77:78]
	v_mul_f64 v[117:118], v[44:45], s[20:21]
	v_add_f64 v[87:88], v[97:98], v[87:88]
	v_add_f64 v[93:94], v[99:100], v[93:94]
	v_fma_f64 v[97:98], v[22:23], s[22:23], v[111:112]
	v_fma_f64 v[99:100], v[40:41], s[0:1], v[101:102]
	v_fma_f64 v[111:112], v[36:37], s[2:3], -v[113:114]
	v_add_f64 v[81:82], v[81:82], v[125:126]
	v_fma_f64 v[101:102], v[40:41], s[0:1], -v[101:102]
	v_mul_f64 v[50:51], v[50:51], s[14:15]
	v_mul_f64 v[48:49], v[48:49], s[14:15]
	v_add_f64 v[85:86], v[85:86], v[93:94]
	v_add_f64 v[87:88], v[97:98], v[87:88]
	;; [unrolled: 1-line block ×3, first 2 shown]
	v_fma_f64 v[99:100], v[32:33], s[2:3], v[117:118]
	v_add_f64 v[81:82], v[111:112], v[81:82]
	v_fma_f64 v[103:104], v[28:29], s[22:23], -v[119:120]
	v_fma_f64 v[93:94], v[42:43], s[0:1], v[115:116]
	v_mul_f64 v[111:112], v[34:35], s[26:27]
	v_mul_f64 v[115:116], v[30:31], s[14:15]
	v_add_f64 v[91:92], v[101:102], v[91:92]
	v_fma_f64 v[101:102], v[32:33], s[2:3], -v[117:118]
	v_add_f64 v[97:98], v[99:100], v[97:98]
	v_mul_f64 v[46:47], v[46:47], s[16:17]
	v_add_f64 v[99:100], v[103:104], v[81:82]
	v_add_f64 v[93:94], v[93:94], v[127:128]
	;; [unrolled: 1-line block ×3, first 2 shown]
	v_fma_f64 v[87:88], v[36:37], s[2:3], v[113:114]
	v_fma_f64 v[103:104], v[26:27], s[22:23], v[111:112]
	v_add_f64 v[91:92], v[101:102], v[91:92]
	v_fma_f64 v[101:102], v[26:27], s[22:23], -v[111:112]
	v_fma_f64 v[111:112], v[42:43], s[4:5], -v[50:51]
	v_fma_f64 v[113:114], v[40:41], s[4:5], v[48:49]
	v_mul_f64 v[44:45], v[44:45], s[16:17]
	v_fma_f64 v[42:43], v[42:43], s[4:5], v[50:51]
	v_add_f64 v[87:88], v[87:88], v[93:94]
	v_fma_f64 v[93:94], v[28:29], s[22:23], v[119:120]
	v_fma_f64 v[40:41], v[40:41], s[4:5], -v[48:49]
	v_mul_f64 v[121:122], v[24:25], s[14:15]
	v_fma_f64 v[48:49], v[36:37], s[18:19], -v[46:47]
	v_mul_f64 v[38:39], v[38:39], s[24:25]
	v_mul_f64 v[34:35], v[34:35], s[24:25]
	v_add_f64 v[42:43], v[42:43], v[107:108]
	v_fma_f64 v[36:37], v[36:37], s[18:19], v[46:47]
	v_add_f64 v[87:88], v[93:94], v[87:88]
	v_fma_f64 v[93:94], v[22:23], s[4:5], v[115:116]
	v_add_f64 v[40:41], v[40:41], v[109:110]
	v_fma_f64 v[83:84], v[12:13], s[2:3], -v[83:84]
	v_fma_f64 v[123:124], v[22:23], s[4:5], -v[115:116]
	v_add_f64 v[89:90], v[103:104], v[97:98]
	v_fma_f64 v[97:98], v[20:21], s[4:5], v[121:122]
	v_add_f64 v[36:37], v[36:37], v[42:43]
	v_mul_f64 v[30:31], v[30:31], s[10:11]
	v_add_f64 v[50:51], v[93:94], v[87:88]
	v_add_f64 v[87:88], v[111:112], v[95:96]
	;; [unrolled: 1-line block ×3, first 2 shown]
	v_fma_f64 v[95:96], v[32:33], s[18:19], v[44:45]
	v_fma_f64 v[32:33], v[32:33], s[18:19], -v[44:45]
	v_mul_f64 v[24:25], v[24:25], s[10:11]
	v_add_f64 v[83:84], v[83:84], v[85:86]
	v_add_f64 v[85:86], v[123:124], v[99:100]
	v_mul_f64 v[99:100], v[18:19], s[10:11]
	v_add_f64 v[44:45], v[48:49], v[87:88]
	v_fma_f64 v[87:88], v[28:29], s[2:3], -v[38:39]
	v_add_f64 v[48:49], v[95:96], v[93:94]
	v_fma_f64 v[93:94], v[26:27], s[2:3], v[34:35]
	v_fma_f64 v[28:29], v[28:29], s[2:3], v[38:39]
	v_add_f64 v[32:33], v[32:33], v[40:41]
	v_fma_f64 v[26:27], v[26:27], s[2:3], -v[34:35]
	v_add_f64 v[89:90], v[97:98], v[89:90]
	v_mul_f64 v[97:98], v[16:17], s[10:11]
	v_fma_f64 v[46:47], v[20:21], s[4:5], -v[121:122]
	v_add_f64 v[38:39], v[87:88], v[44:45]
	v_add_f64 v[40:41], v[93:94], v[48:49]
	v_fma_f64 v[42:43], v[22:23], s[6:7], -v[30:31]
	v_add_f64 v[28:29], v[28:29], v[36:37]
	v_fma_f64 v[22:23], v[22:23], s[6:7], v[30:31]
	v_fma_f64 v[30:31], v[20:21], s[6:7], v[24:25]
	v_add_f64 v[26:27], v[26:27], v[32:33]
	v_fma_f64 v[20:21], v[20:21], s[6:7], -v[24:25]
	v_mul_f64 v[18:19], v[18:19], s[28:29]
	v_mul_f64 v[16:17], v[16:17], s[28:29]
	v_add_f64 v[91:92], v[101:102], v[91:92]
	v_fma_f64 v[103:104], v[14:15], s[6:7], -v[99:100]
	v_fma_f64 v[115:116], v[12:13], s[6:7], v[97:98]
	v_add_f64 v[36:37], v[42:43], v[38:39]
	v_add_f64 v[30:31], v[30:31], v[40:41]
	;; [unrolled: 1-line block ×4, first 2 shown]
	v_fma_f64 v[20:21], v[14:15], s[0:1], -v[18:19]
	v_fma_f64 v[22:23], v[12:13], s[0:1], v[16:17]
	v_add_f64 v[34:35], v[46:47], v[91:92]
	v_fma_f64 v[24:25], v[14:15], s[6:7], v[99:100]
	v_fma_f64 v[32:33], v[12:13], s[6:7], -v[97:98]
	v_fma_f64 v[38:39], v[14:15], s[0:1], v[18:19]
	v_fma_f64 v[40:41], v[12:13], s[0:1], -v[16:17]
	v_add_f64 v[12:13], v[103:104], v[85:86]
	v_add_f64 v[14:15], v[115:116], v[89:90]
	;; [unrolled: 1-line block ×4, first 2 shown]
	s_movk_i32 s0, 0xd0
	v_add_f64 v[16:17], v[24:25], v[50:51]
	v_add_f64 v[18:19], v[32:33], v[34:35]
	v_add_f64 v[24:25], v[38:39], v[28:29]
	v_add_f64 v[26:27], v[40:41], v[26:27]
	v_mad_u32_u24 v28, v64, s0, v69
	s_waitcnt lgkmcnt(0)
	; wave barrier
	ds_write_b128 v28, v[4:7]
	ds_write_b128 v28, v[8:11] offset:16
	ds_write_b128 v28, v[52:55] offset:32
	;; [unrolled: 1-line block ×12, first 2 shown]
	s_waitcnt lgkmcnt(0)
	; wave barrier
	s_waitcnt lgkmcnt(0)
	v_lshl_add_u32 v74, v68, 4, v69
	v_lshl_add_u32 v73, v70, 4, v69
	ds_read_b128 v[24:27], v72
	ds_read_b128 v[60:63], v71 offset:208
	ds_read_b128 v[52:55], v71 offset:416
	;; [unrolled: 1-line block ×3, first 2 shown]
	ds_read_b128 v[20:23], v74
	ds_read_b128 v[16:19], v73
	ds_read_b128 v[48:51], v71 offset:272
	ds_read_b128 v[36:39], v71 offset:336
	;; [unrolled: 1-line block ×6, first 2 shown]
	v_cmp_ne_u32_e64 s[0:1], 0, v64
	v_cmp_eq_u32_e64 s[2:3], 0, v64
                                        ; implicit-def: $vgpr6_vgpr7
                                        ; implicit-def: $vgpr10_vgpr11
                                        ; implicit-def: $vgpr14_vgpr15
	s_and_saveexec_b64 s[4:5], s[2:3]
	s_cbranch_execz .LBB0_15
; %bb.14:
	ds_read_b128 v[0:3], v69 offset:192
	ds_read_b128 v[4:7], v69 offset:400
	;; [unrolled: 1-line block ×4, first 2 shown]
.LBB0_15:
	s_or_b64 exec, exec, s[4:5]
	v_mul_u32_u24_e32 v75, 3, v64
	v_lshlrev_b32_e32 v88, 4, v75
	global_load_dwordx4 v[76:79], v88, s[8:9] offset:32
	global_load_dwordx4 v[80:83], v88, s[8:9] offset:16
	global_load_dwordx4 v[84:87], v88, s[8:9]
	v_mov_b32_e32 v92, s9
	s_waitcnt vmcnt(0) lgkmcnt(10)
	v_mul_f64 v[88:89], v[62:63], v[86:87]
	v_fma_f64 v[88:89], v[60:61], v[84:85], -v[88:89]
	v_mul_f64 v[60:61], v[60:61], v[86:87]
	v_fma_f64 v[62:63], v[62:63], v[84:85], v[60:61]
	s_waitcnt lgkmcnt(9)
	v_mul_f64 v[60:61], v[54:55], v[82:83]
	v_fma_f64 v[84:85], v[52:53], v[80:81], -v[60:61]
	v_mul_f64 v[52:53], v[52:53], v[82:83]
	v_fma_f64 v[80:81], v[54:55], v[80:81], v[52:53]
	s_waitcnt lgkmcnt(3)
	v_mul_f64 v[52:53], v[58:59], v[78:79]
	v_fma_f64 v[82:83], v[56:57], v[76:77], -v[52:53]
	v_mul_f64 v[52:53], v[56:57], v[78:79]
	v_fma_f64 v[86:87], v[58:59], v[76:77], v[52:53]
	v_mul_i32_i24_e32 v52, 3, v68
	v_mov_b32_e32 v53, 0
	v_lshlrev_b64 v[54:55], 4, v[52:53]
	v_mul_i32_i24_e32 v52, 3, v70
	v_add_co_u32_e64 v90, s[4:5], s8, v54
	v_addc_co_u32_e64 v91, s[4:5], v92, v55, s[4:5]
	global_load_dwordx4 v[54:57], v[90:91], off offset:32
	global_load_dwordx4 v[58:61], v[90:91], off offset:16
	global_load_dwordx4 v[76:79], v[90:91], off
	s_waitcnt vmcnt(0)
	v_mul_f64 v[90:91], v[50:51], v[78:79]
	v_fma_f64 v[90:91], v[48:49], v[76:77], -v[90:91]
	v_mul_f64 v[48:49], v[48:49], v[78:79]
	v_fma_f64 v[76:77], v[50:51], v[76:77], v[48:49]
	v_mul_f64 v[48:49], v[42:43], v[60:61]
	v_fma_f64 v[78:79], v[40:41], v[58:59], -v[48:49]
	v_mul_f64 v[40:41], v[40:41], v[60:61]
	v_fma_f64 v[58:59], v[42:43], v[58:59], v[40:41]
	s_waitcnt lgkmcnt(1)
	v_mul_f64 v[40:41], v[46:47], v[56:57]
	v_fma_f64 v[60:61], v[44:45], v[54:55], -v[40:41]
	v_mul_f64 v[40:41], v[44:45], v[56:57]
	v_fma_f64 v[54:55], v[46:47], v[54:55], v[40:41]
	v_lshlrev_b64 v[40:41], 4, v[52:53]
	v_add_co_u32_e64 v56, s[4:5], s8, v40
	v_addc_co_u32_e64 v57, s[4:5], v92, v41, s[4:5]
	global_load_dwordx4 v[40:43], v[56:57], off offset:32
	global_load_dwordx4 v[44:47], v[56:57], off offset:16
	global_load_dwordx4 v[48:51], v[56:57], off
	s_waitcnt lgkmcnt(0)
	; wave barrier
	s_waitcnt vmcnt(0) lgkmcnt(0)
	v_mul_f64 v[56:57], v[38:39], v[50:51]
	v_fma_f64 v[56:57], v[36:37], v[48:49], -v[56:57]
	v_mul_f64 v[36:37], v[36:37], v[50:51]
	v_add_f64 v[50:51], v[22:23], -v[58:59]
	v_fma_f64 v[92:93], v[38:39], v[48:49], v[36:37]
	v_mul_f64 v[36:37], v[34:35], v[46:47]
	v_add_f64 v[38:39], v[26:27], -v[80:81]
	v_add_f64 v[48:49], v[20:21], -v[78:79]
	v_fma_f64 v[94:95], v[32:33], v[44:45], -v[36:37]
	v_mul_f64 v[32:33], v[32:33], v[46:47]
	v_add_f64 v[36:37], v[24:25], -v[84:85]
	v_add_f64 v[46:47], v[90:91], -v[60:61]
	v_fma_f64 v[96:97], v[34:35], v[44:45], v[32:33]
	v_mul_f64 v[32:33], v[30:31], v[42:43]
	v_add_f64 v[44:45], v[76:77], -v[54:55]
	v_add_f64 v[34:35], v[88:89], -v[82:83]
	;; [unrolled: 1-line block ×3, first 2 shown]
	v_fma_f64 v[98:99], v[28:29], v[40:41], -v[32:33]
	v_mul_f64 v[28:29], v[28:29], v[42:43]
	v_add_f64 v[32:33], v[62:63], -v[86:87]
	v_fma_f64 v[42:43], v[22:23], 2.0, -v[50:51]
	v_fma_f64 v[22:23], v[76:77], 2.0, -v[44:45]
	v_add_f64 v[44:45], v[48:49], -v[44:45]
	v_fma_f64 v[58:59], v[18:19], 2.0, -v[78:79]
	v_add_f64 v[60:61], v[56:57], -v[98:99]
	v_fma_f64 v[100:101], v[30:31], v[40:41], v[28:29]
	v_fma_f64 v[28:29], v[24:25], 2.0, -v[36:37]
	v_fma_f64 v[30:31], v[26:27], 2.0, -v[38:39]
	;; [unrolled: 1-line block ×4, first 2 shown]
	v_add_f64 v[62:63], v[16:17], -v[94:95]
	v_fma_f64 v[40:41], v[20:21], 2.0, -v[48:49]
	v_fma_f64 v[20:21], v[90:91], 2.0, -v[46:47]
	v_add_f64 v[76:77], v[92:93], -v[100:101]
	v_add_f64 v[32:33], v[36:37], -v[32:33]
	v_add_f64 v[34:35], v[38:39], v[34:35]
	v_add_f64 v[24:25], v[28:29], -v[24:25]
	v_add_f64 v[26:27], v[30:31], -v[26:27]
	v_fma_f64 v[54:55], v[16:17], 2.0, -v[62:63]
	v_fma_f64 v[16:17], v[56:57], 2.0, -v[60:61]
	v_add_f64 v[20:21], v[40:41], -v[20:21]
	v_fma_f64 v[18:19], v[92:93], 2.0, -v[76:77]
	v_add_f64 v[22:23], v[42:43], -v[22:23]
	v_add_f64 v[46:47], v[50:51], v[46:47]
	v_fma_f64 v[28:29], v[28:29], 2.0, -v[24:25]
	v_fma_f64 v[30:31], v[30:31], 2.0, -v[26:27]
	v_add_f64 v[60:61], v[78:79], v[60:61]
	v_add_f64 v[16:17], v[54:55], -v[16:17]
	v_fma_f64 v[36:37], v[36:37], 2.0, -v[32:33]
	v_add_f64 v[18:19], v[58:59], -v[18:19]
	v_fma_f64 v[38:39], v[38:39], 2.0, -v[34:35]
	v_fma_f64 v[40:41], v[40:41], 2.0, -v[20:21]
	;; [unrolled: 1-line block ×8, first 2 shown]
	v_add_f64 v[58:59], v[62:63], -v[76:77]
	v_fma_f64 v[76:77], v[62:63], 2.0, -v[58:59]
	ds_write_b128 v71, v[28:31]
	ds_write_b128 v71, v[36:39] offset:208
	ds_write_b128 v71, v[24:27] offset:416
	ds_write_b128 v71, v[32:35] offset:624
	ds_write_b128 v74, v[40:43]
	ds_write_b128 v74, v[48:51] offset:208
	ds_write_b128 v74, v[20:23] offset:416
	ds_write_b128 v74, v[44:47] offset:624
	ds_write_b128 v73, v[54:57]
	ds_write_b128 v73, v[76:79] offset:208
	ds_write_b128 v73, v[16:19] offset:416
	ds_write_b128 v73, v[58:61] offset:624
	s_and_saveexec_b64 s[4:5], s[2:3]
	s_cbranch_execz .LBB0_17
; %bb.16:
	v_add_u32_e32 v16, -3, v75
	v_cndmask_b32_e64 v52, v16, 36, s[2:3]
	v_lshlrev_b64 v[16:17], 4, v[52:53]
	v_mov_b32_e32 v18, s9
	v_add_co_u32_e64 v28, s[2:3], s8, v16
	v_addc_co_u32_e64 v29, s[2:3], v18, v17, s[2:3]
	global_load_dwordx4 v[16:19], v[28:29], off offset:16
	global_load_dwordx4 v[20:23], v[28:29], off
	global_load_dwordx4 v[24:27], v[28:29], off offset:32
	s_waitcnt vmcnt(2)
	v_mul_f64 v[28:29], v[8:9], v[18:19]
	s_waitcnt vmcnt(1)
	v_mul_f64 v[30:31], v[6:7], v[22:23]
	v_mul_f64 v[22:23], v[4:5], v[22:23]
	s_waitcnt vmcnt(0)
	v_mul_f64 v[32:33], v[12:13], v[26:27]
	v_mul_f64 v[18:19], v[10:11], v[18:19]
	;; [unrolled: 1-line block ×3, first 2 shown]
	v_fma_f64 v[10:11], v[10:11], v[16:17], v[28:29]
	v_fma_f64 v[4:5], v[4:5], v[20:21], -v[30:31]
	v_fma_f64 v[6:7], v[6:7], v[20:21], v[22:23]
	v_fma_f64 v[14:15], v[14:15], v[24:25], v[32:33]
	v_fma_f64 v[8:9], v[8:9], v[16:17], -v[18:19]
	v_fma_f64 v[12:13], v[12:13], v[24:25], -v[26:27]
	v_add_f64 v[10:11], v[2:3], -v[10:11]
	v_add_f64 v[14:15], v[6:7], -v[14:15]
	;; [unrolled: 1-line block ×4, first 2 shown]
	v_fma_f64 v[16:17], v[2:3], 2.0, -v[10:11]
	v_fma_f64 v[6:7], v[6:7], 2.0, -v[14:15]
	;; [unrolled: 1-line block ×4, first 2 shown]
	v_add_f64 v[2:3], v[10:11], v[12:13]
	v_add_f64 v[0:1], v[8:9], -v[14:15]
	v_add_f64 v[6:7], v[16:17], -v[6:7]
	;; [unrolled: 1-line block ×3, first 2 shown]
	v_fma_f64 v[10:11], v[10:11], 2.0, -v[2:3]
	v_fma_f64 v[8:9], v[8:9], 2.0, -v[0:1]
	;; [unrolled: 1-line block ×4, first 2 shown]
	ds_write_b128 v69, v[8:11] offset:400
	ds_write_b128 v69, v[4:7] offset:608
	;; [unrolled: 1-line block ×4, first 2 shown]
.LBB0_17:
	s_or_b64 exec, exec, s[4:5]
	s_waitcnt lgkmcnt(0)
	; wave barrier
	s_waitcnt lgkmcnt(0)
	ds_read_b128 v[4:7], v72
	v_sub_u32_e32 v12, v69, v65
                                        ; implicit-def: $vgpr2_vgpr3
                                        ; implicit-def: $vgpr10_vgpr11
                                        ; implicit-def: $vgpr8_vgpr9
	s_and_saveexec_b64 s[2:3], s[0:1]
	s_xor_b64 s[0:1], exec, s[2:3]
	s_cbranch_execz .LBB0_19
; %bb.18:
	global_load_dwordx4 v[0:3], v65, s[8:9] offset:624
	ds_read_b128 v[8:11], v12 offset:832
	v_mov_b32_e32 v65, 0
                                        ; implicit-def: $vgpr69
	s_waitcnt lgkmcnt(0)
	v_add_f64 v[13:14], v[4:5], -v[8:9]
	v_add_f64 v[15:16], v[6:7], v[10:11]
	v_add_f64 v[6:7], v[6:7], -v[10:11]
	v_add_f64 v[4:5], v[4:5], v[8:9]
	v_mul_f64 v[13:14], v[13:14], 0.5
	v_mul_f64 v[8:9], v[15:16], 0.5
	;; [unrolled: 1-line block ×3, first 2 shown]
	s_waitcnt vmcnt(0)
	v_mul_f64 v[10:11], v[13:14], v[2:3]
	v_fma_f64 v[15:16], v[8:9], v[2:3], v[6:7]
	v_fma_f64 v[2:3], v[8:9], v[2:3], -v[6:7]
	v_fma_f64 v[17:18], v[4:5], 0.5, v[10:11]
	v_fma_f64 v[4:5], v[4:5], 0.5, -v[10:11]
	v_fma_f64 v[10:11], -v[0:1], v[13:14], v[15:16]
	v_fma_f64 v[2:3], -v[0:1], v[13:14], v[2:3]
	v_fma_f64 v[6:7], v[8:9], v[0:1], v[17:18]
	v_fma_f64 v[0:1], -v[8:9], v[0:1], v[4:5]
	v_mov_b32_e32 v8, v64
	v_mov_b32_e32 v9, v65
                                        ; implicit-def: $vgpr4_vgpr5
	ds_write_b64 v72, v[6:7]
.LBB0_19:
	s_andn2_saveexec_b64 s[0:1], s[0:1]
	s_cbranch_execz .LBB0_21
; %bb.20:
	s_waitcnt lgkmcnt(0)
	v_add_f64 v[2:3], v[4:5], v[6:7]
	ds_read_b64 v[13:14], v69 offset:424
	v_add_f64 v[0:1], v[4:5], -v[6:7]
	v_mov_b32_e32 v10, 0
	v_mov_b32_e32 v8, 0
	v_mov_b32_e32 v11, 0
	s_waitcnt lgkmcnt(0)
	v_xor_b32_e32 v14, 0x80000000, v14
	ds_write_b64 v69, v[13:14] offset:424
	ds_write_b64 v72, v[2:3]
	v_mov_b32_e32 v2, v10
	v_mov_b32_e32 v9, 0
	;; [unrolled: 1-line block ×3, first 2 shown]
.LBB0_21:
	s_or_b64 exec, exec, s[0:1]
	v_mov_b32_e32 v69, 0
	s_waitcnt lgkmcnt(0)
	v_lshlrev_b64 v[4:5], 4, v[68:69]
	v_mov_b32_e32 v6, s9
	v_add_co_u32_e64 v4, s[0:1], s8, v4
	v_addc_co_u32_e64 v5, s[0:1], v6, v5, s[0:1]
	global_load_dwordx4 v[4:7], v[4:5], off offset:624
	v_mov_b32_e32 v71, v69
	v_lshlrev_b64 v[13:14], 4, v[70:71]
	v_mov_b32_e32 v15, s9
	v_add_co_u32_e64 v13, s[0:1], s8, v13
	v_addc_co_u32_e64 v14, s[0:1], v15, v14, s[0:1]
	global_load_dwordx4 v[13:16], v[13:14], off offset:624
	ds_write_b64 v72, v[10:11] offset:8
	ds_write_b128 v12, v[0:3] offset:832
	ds_read_b128 v[17:20], v74
	ds_read_b128 v[21:24], v12 offset:768
	s_add_u32 s0, s8, 0x270
	v_lshlrev_b64 v[0:1], 4, v[8:9]
	s_addc_u32 s1, s9, 0
	v_mov_b32_e32 v8, s1
	s_waitcnt lgkmcnt(0)
	v_add_f64 v[2:3], v[17:18], -v[21:22]
	v_add_f64 v[25:26], v[19:20], v[23:24]
	v_add_f64 v[19:20], v[19:20], -v[23:24]
	v_add_f64 v[17:18], v[17:18], v[21:22]
	v_mul_f64 v[27:28], v[2:3], 0.5
	v_mul_f64 v[25:26], v[25:26], 0.5
	;; [unrolled: 1-line block ×3, first 2 shown]
	v_add_co_u32_e64 v2, s[0:1], s0, v0
	v_addc_co_u32_e64 v3, s[0:1], v8, v1, s[0:1]
	global_load_dwordx4 v[8:11], v[2:3], off offset:320
	s_waitcnt vmcnt(2)
	v_mul_f64 v[21:22], v[27:28], v[6:7]
	v_fma_f64 v[23:24], v[25:26], v[6:7], v[19:20]
	v_fma_f64 v[6:7], v[25:26], v[6:7], -v[19:20]
	v_fma_f64 v[29:30], v[17:18], 0.5, v[21:22]
	v_fma_f64 v[31:32], v[17:18], 0.5, -v[21:22]
	global_load_dwordx4 v[17:20], v[2:3], off offset:192
	v_fma_f64 v[23:24], -v[4:5], v[27:28], v[23:24]
	v_fma_f64 v[6:7], -v[4:5], v[27:28], v[6:7]
	v_fma_f64 v[21:22], v[25:26], v[4:5], v[29:30]
	v_fma_f64 v[4:5], -v[25:26], v[4:5], v[31:32]
	ds_write_b128 v74, v[21:24]
	ds_write_b128 v12, v[4:7] offset:768
	ds_read_b128 v[4:7], v73
	ds_read_b128 v[21:24], v12 offset:704
	s_waitcnt lgkmcnt(0)
	v_add_f64 v[25:26], v[4:5], -v[21:22]
	v_add_f64 v[27:28], v[6:7], v[23:24]
	v_add_f64 v[6:7], v[6:7], -v[23:24]
	v_add_f64 v[4:5], v[4:5], v[21:22]
	v_mul_f64 v[25:26], v[25:26], 0.5
	v_mul_f64 v[27:28], v[27:28], 0.5
	;; [unrolled: 1-line block ×3, first 2 shown]
	s_waitcnt vmcnt(2)
	v_mul_f64 v[21:22], v[25:26], v[15:16]
	v_fma_f64 v[23:24], v[27:28], v[15:16], v[6:7]
	v_fma_f64 v[15:16], v[27:28], v[15:16], -v[6:7]
	v_fma_f64 v[29:30], v[4:5], 0.5, v[21:22]
	v_fma_f64 v[31:32], v[4:5], 0.5, -v[21:22]
	global_load_dwordx4 v[4:7], v[2:3], off offset:256
	v_fma_f64 v[23:24], -v[13:14], v[25:26], v[23:24]
	v_fma_f64 v[15:16], -v[13:14], v[25:26], v[15:16]
	v_fma_f64 v[21:22], v[27:28], v[13:14], v[29:30]
	v_fma_f64 v[13:14], -v[27:28], v[13:14], v[31:32]
	ds_write_b128 v73, v[21:24]
	ds_write_b128 v12, v[13:16] offset:704
	ds_read_b128 v[13:16], v72 offset:192
	ds_read_b128 v[21:24], v12 offset:640
	s_waitcnt lgkmcnt(0)
	v_add_f64 v[25:26], v[13:14], -v[21:22]
	v_add_f64 v[27:28], v[15:16], v[23:24]
	v_add_f64 v[15:16], v[15:16], -v[23:24]
	v_add_f64 v[13:14], v[13:14], v[21:22]
	v_mul_f64 v[23:24], v[25:26], 0.5
	v_mul_f64 v[25:26], v[27:28], 0.5
	;; [unrolled: 1-line block ×3, first 2 shown]
	s_waitcnt vmcnt(1)
	v_mul_f64 v[21:22], v[23:24], v[19:20]
	v_fma_f64 v[27:28], v[25:26], v[19:20], v[15:16]
	v_fma_f64 v[19:20], v[25:26], v[19:20], -v[15:16]
	v_fma_f64 v[29:30], v[13:14], 0.5, v[21:22]
	v_fma_f64 v[21:22], v[13:14], 0.5, -v[21:22]
	v_fma_f64 v[15:16], -v[17:18], v[23:24], v[27:28]
	v_fma_f64 v[19:20], -v[17:18], v[23:24], v[19:20]
	v_fma_f64 v[13:14], v[25:26], v[17:18], v[29:30]
	v_fma_f64 v[17:18], -v[25:26], v[17:18], v[21:22]
	ds_write_b128 v72, v[13:16] offset:192
	ds_write_b128 v12, v[17:20] offset:640
	ds_read_b128 v[13:16], v72 offset:256
	ds_read_b128 v[17:20], v12 offset:576
	s_waitcnt lgkmcnt(0)
	v_add_f64 v[21:22], v[13:14], -v[17:18]
	v_add_f64 v[23:24], v[15:16], v[19:20]
	v_add_f64 v[15:16], v[15:16], -v[19:20]
	v_add_f64 v[13:14], v[13:14], v[17:18]
	v_mul_f64 v[19:20], v[21:22], 0.5
	v_mul_f64 v[21:22], v[23:24], 0.5
	;; [unrolled: 1-line block ×3, first 2 shown]
	s_waitcnt vmcnt(0)
	v_mul_f64 v[17:18], v[19:20], v[6:7]
	v_fma_f64 v[23:24], v[21:22], v[6:7], v[15:16]
	v_fma_f64 v[6:7], v[21:22], v[6:7], -v[15:16]
	v_fma_f64 v[25:26], v[13:14], 0.5, v[17:18]
	v_fma_f64 v[17:18], v[13:14], 0.5, -v[17:18]
	v_fma_f64 v[15:16], -v[4:5], v[19:20], v[23:24]
	v_fma_f64 v[6:7], -v[4:5], v[19:20], v[6:7]
	v_fma_f64 v[13:14], v[21:22], v[4:5], v[25:26]
	v_fma_f64 v[4:5], -v[21:22], v[4:5], v[17:18]
	ds_write_b128 v72, v[13:16] offset:256
	ds_write_b128 v12, v[4:7] offset:576
	ds_read_b128 v[4:7], v72 offset:320
	ds_read_b128 v[13:16], v12 offset:512
	s_waitcnt lgkmcnt(0)
	v_add_f64 v[17:18], v[4:5], -v[13:14]
	v_add_f64 v[19:20], v[6:7], v[15:16]
	v_add_f64 v[6:7], v[6:7], -v[15:16]
	v_add_f64 v[4:5], v[4:5], v[13:14]
	v_mul_f64 v[15:16], v[17:18], 0.5
	v_mul_f64 v[17:18], v[19:20], 0.5
	;; [unrolled: 1-line block ×3, first 2 shown]
	v_mul_f64 v[13:14], v[15:16], v[10:11]
	v_fma_f64 v[19:20], v[17:18], v[10:11], v[6:7]
	v_fma_f64 v[10:11], v[17:18], v[10:11], -v[6:7]
	v_fma_f64 v[21:22], v[4:5], 0.5, v[13:14]
	v_fma_f64 v[13:14], v[4:5], 0.5, -v[13:14]
	v_fma_f64 v[6:7], -v[8:9], v[15:16], v[19:20]
	v_fma_f64 v[10:11], -v[8:9], v[15:16], v[10:11]
	v_fma_f64 v[4:5], v[17:18], v[8:9], v[21:22]
	v_fma_f64 v[8:9], -v[17:18], v[8:9], v[13:14]
	v_or_b32_e32 v13, 24, v64
	v_cmp_gt_u32_e64 s[0:1], 26, v13
	ds_write_b128 v72, v[4:7] offset:320
	ds_write_b128 v12, v[8:11] offset:512
	s_and_saveexec_b64 s[2:3], s[0:1]
	s_cbranch_execz .LBB0_23
; %bb.22:
	global_load_dwordx4 v[2:5], v[2:3], off offset:384
	ds_read_b128 v[6:9], v72 offset:384
	ds_read_b128 v[13:16], v12 offset:448
	s_waitcnt lgkmcnt(0)
	v_add_f64 v[10:11], v[6:7], -v[13:14]
	v_add_f64 v[17:18], v[8:9], v[15:16]
	v_add_f64 v[8:9], v[8:9], -v[15:16]
	v_add_f64 v[6:7], v[6:7], v[13:14]
	v_mul_f64 v[10:11], v[10:11], 0.5
	v_mul_f64 v[15:16], v[17:18], 0.5
	;; [unrolled: 1-line block ×3, first 2 shown]
	s_waitcnt vmcnt(0)
	v_mul_f64 v[13:14], v[10:11], v[4:5]
	v_fma_f64 v[17:18], v[15:16], v[4:5], v[8:9]
	v_fma_f64 v[4:5], v[15:16], v[4:5], -v[8:9]
	v_fma_f64 v[8:9], v[6:7], 0.5, v[13:14]
	v_fma_f64 v[13:14], v[6:7], 0.5, -v[13:14]
	v_fma_f64 v[6:7], -v[2:3], v[10:11], v[17:18]
	v_fma_f64 v[10:11], -v[2:3], v[10:11], v[4:5]
	v_fma_f64 v[4:5], v[15:16], v[2:3], v[8:9]
	v_fma_f64 v[8:9], -v[15:16], v[2:3], v[13:14]
	ds_write_b128 v72, v[4:7] offset:384
	ds_write_b128 v12, v[8:11] offset:448
.LBB0_23:
	s_or_b64 exec, exec, s[2:3]
	s_waitcnt lgkmcnt(0)
	; wave barrier
	s_waitcnt lgkmcnt(0)
	s_and_saveexec_b64 s[0:1], vcc
	s_cbranch_execz .LBB0_26
; %bb.24:
	ds_read_b128 v[4:7], v72
	ds_read_b128 v[8:11], v72 offset:64
	ds_read_b128 v[12:15], v72 offset:128
	v_mov_b32_e32 v3, s13
	v_add_co_u32_e32 v2, vcc, s12, v66
	v_addc_co_u32_e32 v3, vcc, v3, v67, vcc
	v_add_co_u32_e32 v0, vcc, v2, v0
	v_addc_co_u32_e32 v1, vcc, v3, v1, vcc
	s_waitcnt lgkmcnt(2)
	global_store_dwordx4 v[0:1], v[4:7], off
	s_waitcnt lgkmcnt(1)
	global_store_dwordx4 v[0:1], v[8:11], off offset:64
	s_waitcnt lgkmcnt(0)
	global_store_dwordx4 v[0:1], v[12:15], off offset:128
	ds_read_b128 v[4:7], v72 offset:192
	ds_read_b128 v[8:11], v72 offset:256
	;; [unrolled: 1-line block ×5, first 2 shown]
	s_waitcnt lgkmcnt(4)
	global_store_dwordx4 v[0:1], v[4:7], off offset:192
	s_waitcnt lgkmcnt(3)
	global_store_dwordx4 v[0:1], v[8:11], off offset:256
	;; [unrolled: 2-line block ×5, first 2 shown]
	ds_read_b128 v[4:7], v72 offset:512
	ds_read_b128 v[8:11], v72 offset:576
	;; [unrolled: 1-line block ×5, first 2 shown]
	v_cmp_eq_u32_e32 vcc, 3, v64
	s_waitcnt lgkmcnt(4)
	global_store_dwordx4 v[0:1], v[4:7], off offset:512
	s_waitcnt lgkmcnt(3)
	global_store_dwordx4 v[0:1], v[8:11], off offset:576
	;; [unrolled: 2-line block ×5, first 2 shown]
	s_and_b64 exec, exec, vcc
	s_cbranch_execz .LBB0_26
; %bb.25:
	ds_read_b128 v[4:7], v72 offset:784
	s_waitcnt lgkmcnt(0)
	global_store_dwordx4 v[2:3], v[4:7], off offset:832
.LBB0_26:
	s_endpgm
	.section	.rodata,"a",@progbits
	.p2align	6, 0x0
	.amdhsa_kernel fft_rtc_fwd_len52_factors_13_4_wgs_64_tpt_4_halfLds_dp_ip_CI_unitstride_sbrr_R2C_dirReg
		.amdhsa_group_segment_fixed_size 0
		.amdhsa_private_segment_fixed_size 0
		.amdhsa_kernarg_size 88
		.amdhsa_user_sgpr_count 6
		.amdhsa_user_sgpr_private_segment_buffer 1
		.amdhsa_user_sgpr_dispatch_ptr 0
		.amdhsa_user_sgpr_queue_ptr 0
		.amdhsa_user_sgpr_kernarg_segment_ptr 1
		.amdhsa_user_sgpr_dispatch_id 0
		.amdhsa_user_sgpr_flat_scratch_init 0
		.amdhsa_user_sgpr_private_segment_size 0
		.amdhsa_uses_dynamic_stack 0
		.amdhsa_system_sgpr_private_segment_wavefront_offset 0
		.amdhsa_system_sgpr_workgroup_id_x 1
		.amdhsa_system_sgpr_workgroup_id_y 0
		.amdhsa_system_sgpr_workgroup_id_z 0
		.amdhsa_system_sgpr_workgroup_info 0
		.amdhsa_system_vgpr_workitem_id 0
		.amdhsa_next_free_vgpr 129
		.amdhsa_next_free_sgpr 36
		.amdhsa_reserve_vcc 1
		.amdhsa_reserve_flat_scratch 0
		.amdhsa_float_round_mode_32 0
		.amdhsa_float_round_mode_16_64 0
		.amdhsa_float_denorm_mode_32 3
		.amdhsa_float_denorm_mode_16_64 3
		.amdhsa_dx10_clamp 1
		.amdhsa_ieee_mode 1
		.amdhsa_fp16_overflow 0
		.amdhsa_exception_fp_ieee_invalid_op 0
		.amdhsa_exception_fp_denorm_src 0
		.amdhsa_exception_fp_ieee_div_zero 0
		.amdhsa_exception_fp_ieee_overflow 0
		.amdhsa_exception_fp_ieee_underflow 0
		.amdhsa_exception_fp_ieee_inexact 0
		.amdhsa_exception_int_div_zero 0
	.end_amdhsa_kernel
	.text
.Lfunc_end0:
	.size	fft_rtc_fwd_len52_factors_13_4_wgs_64_tpt_4_halfLds_dp_ip_CI_unitstride_sbrr_R2C_dirReg, .Lfunc_end0-fft_rtc_fwd_len52_factors_13_4_wgs_64_tpt_4_halfLds_dp_ip_CI_unitstride_sbrr_R2C_dirReg
                                        ; -- End function
	.section	.AMDGPU.csdata,"",@progbits
; Kernel info:
; codeLenInByte = 8524
; NumSgprs: 40
; NumVgprs: 129
; ScratchSize: 0
; MemoryBound: 0
; FloatMode: 240
; IeeeMode: 1
; LDSByteSize: 0 bytes/workgroup (compile time only)
; SGPRBlocks: 4
; VGPRBlocks: 32
; NumSGPRsForWavesPerEU: 40
; NumVGPRsForWavesPerEU: 129
; Occupancy: 1
; WaveLimiterHint : 1
; COMPUTE_PGM_RSRC2:SCRATCH_EN: 0
; COMPUTE_PGM_RSRC2:USER_SGPR: 6
; COMPUTE_PGM_RSRC2:TRAP_HANDLER: 0
; COMPUTE_PGM_RSRC2:TGID_X_EN: 1
; COMPUTE_PGM_RSRC2:TGID_Y_EN: 0
; COMPUTE_PGM_RSRC2:TGID_Z_EN: 0
; COMPUTE_PGM_RSRC2:TIDIG_COMP_CNT: 0
	.type	__hip_cuid_217f073ac9e3b629,@object ; @__hip_cuid_217f073ac9e3b629
	.section	.bss,"aw",@nobits
	.globl	__hip_cuid_217f073ac9e3b629
__hip_cuid_217f073ac9e3b629:
	.byte	0                               ; 0x0
	.size	__hip_cuid_217f073ac9e3b629, 1

	.ident	"AMD clang version 19.0.0git (https://github.com/RadeonOpenCompute/llvm-project roc-6.4.0 25133 c7fe45cf4b819c5991fe208aaa96edf142730f1d)"
	.section	".note.GNU-stack","",@progbits
	.addrsig
	.addrsig_sym __hip_cuid_217f073ac9e3b629
	.amdgpu_metadata
---
amdhsa.kernels:
  - .args:
      - .actual_access:  read_only
        .address_space:  global
        .offset:         0
        .size:           8
        .value_kind:     global_buffer
      - .offset:         8
        .size:           8
        .value_kind:     by_value
      - .actual_access:  read_only
        .address_space:  global
        .offset:         16
        .size:           8
        .value_kind:     global_buffer
      - .actual_access:  read_only
        .address_space:  global
        .offset:         24
        .size:           8
        .value_kind:     global_buffer
      - .offset:         32
        .size:           8
        .value_kind:     by_value
      - .actual_access:  read_only
        .address_space:  global
        .offset:         40
        .size:           8
        .value_kind:     global_buffer
      - .actual_access:  read_only
        .address_space:  global
        .offset:         48
        .size:           8
        .value_kind:     global_buffer
      - .offset:         56
        .size:           4
        .value_kind:     by_value
      - .actual_access:  read_only
        .address_space:  global
        .offset:         64
        .size:           8
        .value_kind:     global_buffer
      - .actual_access:  read_only
        .address_space:  global
        .offset:         72
        .size:           8
        .value_kind:     global_buffer
      - .address_space:  global
        .offset:         80
        .size:           8
        .value_kind:     global_buffer
    .group_segment_fixed_size: 0
    .kernarg_segment_align: 8
    .kernarg_segment_size: 88
    .language:       OpenCL C
    .language_version:
      - 2
      - 0
    .max_flat_workgroup_size: 64
    .name:           fft_rtc_fwd_len52_factors_13_4_wgs_64_tpt_4_halfLds_dp_ip_CI_unitstride_sbrr_R2C_dirReg
    .private_segment_fixed_size: 0
    .sgpr_count:     40
    .sgpr_spill_count: 0
    .symbol:         fft_rtc_fwd_len52_factors_13_4_wgs_64_tpt_4_halfLds_dp_ip_CI_unitstride_sbrr_R2C_dirReg.kd
    .uniform_work_group_size: 1
    .uses_dynamic_stack: false
    .vgpr_count:     129
    .vgpr_spill_count: 0
    .wavefront_size: 64
amdhsa.target:   amdgcn-amd-amdhsa--gfx906
amdhsa.version:
  - 1
  - 2
...

	.end_amdgpu_metadata
